;; amdgpu-corpus repo=ROCm/rocFFT kind=compiled arch=gfx950 opt=O3
	.text
	.amdgcn_target "amdgcn-amd-amdhsa--gfx950"
	.amdhsa_code_object_version 6
	.protected	fft_rtc_fwd_len540_factors_3_10_6_3_wgs_216_tpt_54_halfLds_sp_op_CI_CI_sbrr_dirReg ; -- Begin function fft_rtc_fwd_len540_factors_3_10_6_3_wgs_216_tpt_54_halfLds_sp_op_CI_CI_sbrr_dirReg
	.globl	fft_rtc_fwd_len540_factors_3_10_6_3_wgs_216_tpt_54_halfLds_sp_op_CI_CI_sbrr_dirReg
	.p2align	8
	.type	fft_rtc_fwd_len540_factors_3_10_6_3_wgs_216_tpt_54_halfLds_sp_op_CI_CI_sbrr_dirReg,@function
fft_rtc_fwd_len540_factors_3_10_6_3_wgs_216_tpt_54_halfLds_sp_op_CI_CI_sbrr_dirReg: ; @fft_rtc_fwd_len540_factors_3_10_6_3_wgs_216_tpt_54_halfLds_sp_op_CI_CI_sbrr_dirReg
; %bb.0:
	s_load_dwordx4 s[4:7], s[0:1], 0x18
	s_load_dwordx4 s[8:11], s[0:1], 0x0
	;; [unrolled: 1-line block ×3, first 2 shown]
	v_mul_u32_u24_e32 v1, 0x4be, v0
	v_lshrrev_b32_e32 v14, 16, v1
	s_waitcnt lgkmcnt(0)
	s_load_dwordx2 s[18:19], s[4:5], 0x0
	s_load_dwordx2 s[16:17], s[6:7], 0x0
	v_lshl_add_u32 v10, s2, 2, v14
	v_mov_b32_e32 v8, 0
	v_cmp_lt_u64_e64 s[2:3], s[10:11], 2
	v_mov_b32_e32 v11, v8
	s_and_b64 vcc, exec, s[2:3]
	v_mov_b64_e32 v[6:7], 0
	s_cbranch_vccnz .LBB0_8
; %bb.1:
	s_load_dwordx2 s[2:3], s[0:1], 0x10
	s_add_u32 s20, s6, 8
	s_addc_u32 s21, s7, 0
	s_add_u32 s22, s4, 8
	s_addc_u32 s23, s5, 0
	s_waitcnt lgkmcnt(0)
	s_add_u32 s24, s2, 8
	v_mov_b64_e32 v[6:7], 0
	s_addc_u32 s25, s3, 0
	s_mov_b64 s[26:27], 1
	v_mov_b64_e32 v[2:3], v[6:7]
.LBB0_2:                                ; =>This Inner Loop Header: Depth=1
	s_load_dwordx2 s[28:29], s[24:25], 0x0
                                        ; implicit-def: $vgpr4_vgpr5
	s_waitcnt lgkmcnt(0)
	v_or_b32_e32 v9, s29, v11
	v_cmp_ne_u64_e32 vcc, 0, v[8:9]
	s_and_saveexec_b64 s[2:3], vcc
	s_xor_b64 s[30:31], exec, s[2:3]
	s_cbranch_execz .LBB0_4
; %bb.3:                                ;   in Loop: Header=BB0_2 Depth=1
	v_cvt_f32_u32_e32 v1, s28
	v_cvt_f32_u32_e32 v4, s29
	s_sub_u32 s2, 0, s28
	s_subb_u32 s3, 0, s29
	v_fmac_f32_e32 v1, 0x4f800000, v4
	v_rcp_f32_e32 v1, v1
	s_nop 0
	v_mul_f32_e32 v1, 0x5f7ffffc, v1
	v_mul_f32_e32 v4, 0x2f800000, v1
	v_trunc_f32_e32 v4, v4
	v_fmac_f32_e32 v1, 0xcf800000, v4
	v_cvt_u32_f32_e32 v9, v4
	v_cvt_u32_f32_e32 v1, v1
	v_mul_lo_u32 v4, s2, v9
	v_mul_hi_u32 v12, s2, v1
	v_mul_lo_u32 v5, s3, v1
	v_add_u32_e32 v12, v12, v4
	v_mul_lo_u32 v15, s2, v1
	v_add_u32_e32 v16, v12, v5
	v_mul_hi_u32 v4, v1, v15
	v_mul_hi_u32 v13, v1, v16
	v_mul_lo_u32 v12, v1, v16
	v_mov_b32_e32 v5, v8
	v_lshl_add_u64 v[4:5], v[4:5], 0, v[12:13]
	v_mul_hi_u32 v13, v9, v15
	v_mul_lo_u32 v15, v9, v15
	v_add_co_u32_e32 v4, vcc, v4, v15
	v_mul_hi_u32 v12, v9, v16
	s_nop 0
	v_addc_co_u32_e32 v4, vcc, v5, v13, vcc
	v_mov_b32_e32 v5, v8
	s_nop 0
	v_addc_co_u32_e32 v13, vcc, 0, v12, vcc
	v_mul_lo_u32 v12, v9, v16
	v_lshl_add_u64 v[4:5], v[4:5], 0, v[12:13]
	v_add_co_u32_e32 v1, vcc, v1, v4
	v_mul_lo_u32 v12, s2, v1
	s_nop 0
	v_addc_co_u32_e32 v9, vcc, v9, v5, vcc
	v_mul_lo_u32 v4, s2, v9
	v_mul_hi_u32 v5, s2, v1
	v_add_u32_e32 v4, v5, v4
	v_mul_lo_u32 v5, s3, v1
	v_add_u32_e32 v15, v4, v5
	v_mul_hi_u32 v17, v9, v12
	v_mul_lo_u32 v18, v9, v12
	v_mul_hi_u32 v5, v1, v15
	v_mul_lo_u32 v4, v1, v15
	v_mul_hi_u32 v12, v1, v12
	v_mov_b32_e32 v13, v8
	v_lshl_add_u64 v[4:5], v[12:13], 0, v[4:5]
	v_add_co_u32_e32 v4, vcc, v4, v18
	v_mul_hi_u32 v16, v9, v15
	s_nop 0
	v_addc_co_u32_e32 v4, vcc, v5, v17, vcc
	v_mul_lo_u32 v12, v9, v15
	s_nop 0
	v_addc_co_u32_e32 v13, vcc, 0, v16, vcc
	v_mov_b32_e32 v5, v8
	v_lshl_add_u64 v[4:5], v[4:5], 0, v[12:13]
	v_add_co_u32_e32 v1, vcc, v1, v4
	v_mul_hi_u32 v12, v10, v1
	s_nop 0
	v_addc_co_u32_e32 v9, vcc, v9, v5, vcc
	v_mad_u64_u32 v[4:5], s[2:3], v10, v9, 0
	v_mov_b32_e32 v13, v8
	v_lshl_add_u64 v[4:5], v[12:13], 0, v[4:5]
	v_mad_u64_u32 v[16:17], s[2:3], v11, v1, 0
	v_add_co_u32_e32 v1, vcc, v4, v16
	v_mad_u64_u32 v[12:13], s[2:3], v11, v9, 0
	s_nop 0
	v_addc_co_u32_e32 v4, vcc, v5, v17, vcc
	v_mov_b32_e32 v5, v8
	s_nop 0
	v_addc_co_u32_e32 v13, vcc, 0, v13, vcc
	v_lshl_add_u64 v[4:5], v[4:5], 0, v[12:13]
	v_mul_lo_u32 v1, s29, v4
	v_mul_lo_u32 v9, s28, v5
	v_mad_u64_u32 v[12:13], s[2:3], s28, v4, 0
	v_add3_u32 v1, v13, v9, v1
	v_sub_u32_e32 v9, v11, v1
	v_mov_b32_e32 v13, s29
	v_sub_co_u32_e32 v15, vcc, v10, v12
	v_lshl_add_u64 v[16:17], v[4:5], 0, 1
	s_nop 0
	v_subb_co_u32_e64 v9, s[2:3], v9, v13, vcc
	v_subrev_co_u32_e64 v12, s[2:3], s28, v15
	v_subb_co_u32_e32 v1, vcc, v11, v1, vcc
	s_nop 0
	v_subbrev_co_u32_e64 v9, s[2:3], 0, v9, s[2:3]
	v_cmp_le_u32_e64 s[2:3], s29, v9
	v_cmp_le_u32_e32 vcc, s29, v1
	s_nop 0
	v_cndmask_b32_e64 v13, 0, -1, s[2:3]
	v_cmp_le_u32_e64 s[2:3], s28, v12
	s_nop 1
	v_cndmask_b32_e64 v12, 0, -1, s[2:3]
	v_cmp_eq_u32_e64 s[2:3], s29, v9
	s_nop 1
	v_cndmask_b32_e64 v9, v13, v12, s[2:3]
	v_lshl_add_u64 v[12:13], v[4:5], 0, 2
	v_cmp_ne_u32_e64 s[2:3], 0, v9
	s_nop 1
	v_cndmask_b32_e64 v9, v17, v13, s[2:3]
	v_cndmask_b32_e64 v13, 0, -1, vcc
	v_cmp_le_u32_e32 vcc, s28, v15
	s_nop 1
	v_cndmask_b32_e64 v15, 0, -1, vcc
	v_cmp_eq_u32_e32 vcc, s29, v1
	s_nop 1
	v_cndmask_b32_e32 v1, v13, v15, vcc
	v_cmp_ne_u32_e32 vcc, 0, v1
	v_cndmask_b32_e64 v1, v16, v12, s[2:3]
	s_nop 0
	v_cndmask_b32_e32 v5, v5, v9, vcc
	v_cndmask_b32_e32 v4, v4, v1, vcc
.LBB0_4:                                ;   in Loop: Header=BB0_2 Depth=1
	s_andn2_saveexec_b64 s[2:3], s[30:31]
	s_cbranch_execz .LBB0_6
; %bb.5:                                ;   in Loop: Header=BB0_2 Depth=1
	v_cvt_f32_u32_e32 v1, s28
	s_sub_i32 s30, 0, s28
	v_rcp_iflag_f32_e32 v1, v1
	s_nop 0
	v_mul_f32_e32 v1, 0x4f7ffffe, v1
	v_cvt_u32_f32_e32 v1, v1
	v_mul_lo_u32 v4, s30, v1
	v_mul_hi_u32 v4, v1, v4
	v_add_u32_e32 v1, v1, v4
	v_mul_hi_u32 v1, v10, v1
	v_mul_lo_u32 v4, v1, s28
	v_sub_u32_e32 v4, v10, v4
	v_add_u32_e32 v5, 1, v1
	v_subrev_u32_e32 v9, s28, v4
	v_cmp_le_u32_e32 vcc, s28, v4
	s_nop 1
	v_cndmask_b32_e32 v4, v4, v9, vcc
	v_cndmask_b32_e32 v1, v1, v5, vcc
	v_add_u32_e32 v5, 1, v1
	v_cmp_le_u32_e32 vcc, s28, v4
	s_nop 1
	v_cndmask_b32_e32 v4, v1, v5, vcc
	v_mov_b32_e32 v5, v8
.LBB0_6:                                ;   in Loop: Header=BB0_2 Depth=1
	s_or_b64 exec, exec, s[2:3]
	v_mad_u64_u32 v[12:13], s[2:3], v4, s28, 0
	s_load_dwordx2 s[2:3], s[22:23], 0x0
	v_mul_lo_u32 v1, v5, s28
	v_mul_lo_u32 v9, v4, s29
	s_load_dwordx2 s[28:29], s[20:21], 0x0
	s_add_u32 s26, s26, 1
	v_add3_u32 v1, v13, v9, v1
	v_sub_co_u32_e32 v9, vcc, v10, v12
	s_addc_u32 s27, s27, 0
	s_nop 0
	v_subb_co_u32_e32 v1, vcc, v11, v1, vcc
	s_add_u32 s20, s20, 8
	s_waitcnt lgkmcnt(0)
	v_mul_lo_u32 v10, s2, v1
	v_mul_lo_u32 v11, s3, v9
	v_mad_u64_u32 v[6:7], s[2:3], s2, v9, v[6:7]
	s_addc_u32 s21, s21, 0
	v_add3_u32 v7, v11, v7, v10
	v_mul_lo_u32 v1, s28, v1
	v_mul_lo_u32 v10, s29, v9
	v_mad_u64_u32 v[2:3], s[2:3], s28, v9, v[2:3]
	s_add_u32 s22, s22, 8
	v_add3_u32 v3, v10, v3, v1
	s_addc_u32 s23, s23, 0
	v_mov_b64_e32 v[10:11], s[10:11]
	s_add_u32 s24, s24, 8
	v_cmp_ge_u64_e32 vcc, s[26:27], v[10:11]
	s_addc_u32 s25, s25, 0
	s_cbranch_vccnz .LBB0_9
; %bb.7:                                ;   in Loop: Header=BB0_2 Depth=1
	v_mov_b64_e32 v[10:11], v[4:5]
	s_branch .LBB0_2
.LBB0_8:
	v_mov_b64_e32 v[2:3], v[6:7]
	v_mov_b64_e32 v[4:5], v[10:11]
.LBB0_9:
	s_load_dwordx2 s[0:1], s[0:1], 0x28
	s_lshl_b64 s[20:21], s[10:11], 3
	s_add_u32 s6, s6, s20
	s_addc_u32 s7, s7, s21
                                        ; implicit-def: $vgpr48
                                        ; implicit-def: $vgpr49
                                        ; implicit-def: $vgpr50
	s_waitcnt lgkmcnt(0)
	v_cmp_gt_u64_e32 vcc, s[0:1], v[4:5]
	v_cmp_le_u64_e64 s[0:1], s[0:1], v[4:5]
	s_and_saveexec_b64 s[2:3], s[0:1]
	s_xor_b64 s[0:1], exec, s[2:3]
; %bb.10:
	s_mov_b32 s2, 0x4bda130
	v_mul_hi_u32 v1, v0, s2
	v_mul_u32_u24_e32 v1, 54, v1
	v_sub_u32_e32 v48, v0, v1
	v_add_u32_e32 v49, 54, v48
	v_add_u32_e32 v50, 0x6c, v48
                                        ; implicit-def: $vgpr0
                                        ; implicit-def: $vgpr6_vgpr7
; %bb.11:
	s_or_saveexec_b64 s[2:3], s[0:1]
	s_load_dwordx2 s[10:11], s[6:7], 0x0
                                        ; implicit-def: $vgpr22
                                        ; implicit-def: $vgpr20
                                        ; implicit-def: $vgpr18
                                        ; implicit-def: $vgpr24
                                        ; implicit-def: $vgpr26
                                        ; implicit-def: $vgpr8
                                        ; implicit-def: $vgpr10
                                        ; implicit-def: $vgpr16
                                        ; implicit-def: $vgpr12
                                        ; implicit-def: $vgpr28
                                        ; implicit-def: $vgpr32
                                        ; implicit-def: $vgpr30
	s_xor_b64 exec, exec, s[2:3]
	s_cbranch_execz .LBB0_15
; %bb.12:
	s_add_u32 s0, s4, s20
	s_addc_u32 s1, s5, s21
	s_load_dwordx2 s[0:1], s[0:1], 0x0
	s_mov_b32 s4, 0x4bda130
                                        ; implicit-def: $vgpr33
	s_waitcnt lgkmcnt(0)
	v_mul_lo_u32 v1, s1, v4
	v_mul_lo_u32 v10, s0, v5
	v_mad_u64_u32 v[8:9], s[0:1], s0, v4, 0
	v_add3_u32 v9, v9, v10, v1
	v_mul_hi_u32 v1, v0, s4
	v_mul_u32_u24_e32 v1, 54, v1
	v_sub_u32_e32 v48, v0, v1
	v_mad_u64_u32 v[10:11], s[0:1], s18, v48, 0
	v_mov_b32_e32 v0, v11
	v_mad_u64_u32 v[0:1], s[0:1], s19, v48, v[0:1]
	v_mov_b32_e32 v11, v0
	v_lshl_add_u64 v[0:1], v[8:9], 3, s[12:13]
	v_lshl_add_u64 v[0:1], v[6:7], 3, v[0:1]
	;; [unrolled: 1-line block ×3, first 2 shown]
	v_add_u32_e32 v11, 0xb4, v48
	v_mad_u64_u32 v[8:9], s[0:1], s18, v11, 0
	v_mov_b32_e32 v10, v9
	v_mad_u64_u32 v[10:11], s[0:1], s19, v11, v[10:11]
	v_mov_b32_e32 v9, v10
	v_add_u32_e32 v11, 0x168, v48
	v_lshl_add_u64 v[18:19], v[8:9], 3, v[0:1]
	v_mad_u64_u32 v[8:9], s[0:1], s18, v11, 0
	v_mov_b32_e32 v10, v9
	v_mad_u64_u32 v[10:11], s[0:1], s19, v11, v[10:11]
	v_mov_b32_e32 v9, v10
	v_add_u32_e32 v49, 54, v48
	v_lshl_add_u64 v[20:21], v[8:9], 3, v[0:1]
	;; [unrolled: 6-line block ×3, first 2 shown]
	global_load_dwordx2 v[12:13], v[6:7], off
	global_load_dwordx2 v[16:17], v[18:19], off
	;; [unrolled: 1-line block ×4, first 2 shown]
	v_mad_u64_u32 v[6:7], s[0:1], s18, v15, 0
	v_mov_b32_e32 v18, v7
	v_mad_u64_u32 v[18:19], s[0:1], s19, v15, v[18:19]
	v_add_u32_e32 v15, 0x19e, v48
	v_mov_b32_e32 v7, v18
	v_mad_u64_u32 v[18:19], s[0:1], s18, v15, 0
	v_mov_b32_e32 v20, v19
	v_mad_u64_u32 v[20:21], s[0:1], s19, v15, v[20:21]
	v_mov_b32_e32 v19, v20
	v_add_u32_e32 v50, 0x6c, v48
	v_lshl_add_u64 v[22:23], v[18:19], 3, v[0:1]
	v_mad_u64_u32 v[18:19], s[0:1], s18, v50, 0
	v_mov_b32_e32 v20, v19
	v_mad_u64_u32 v[20:21], s[0:1], s19, v50, v[20:21]
	v_mov_b32_e32 v19, v20
	v_add_u32_e32 v15, 0x120, v48
	v_lshl_add_u64 v[28:29], v[18:19], 3, v[0:1]
	v_mad_u64_u32 v[18:19], s[0:1], s18, v15, 0
	v_mov_b32_e32 v20, v19
	v_mad_u64_u32 v[20:21], s[0:1], s19, v15, v[20:21]
	v_lshl_add_u64 v[6:7], v[6:7], 3, v[0:1]
	v_mov_b32_e32 v19, v20
	v_add_u32_e32 v15, 0x1d4, v48
	v_lshl_add_u64 v[30:31], v[18:19], 3, v[0:1]
	global_load_dwordx2 v[26:27], v[6:7], off
	global_load_dwordx2 v[24:25], v[22:23], off
	;; [unrolled: 1-line block ×4, first 2 shown]
	v_mad_u64_u32 v[6:7], s[0:1], s18, v15, 0
	v_mov_b32_e32 v22, v7
	v_mad_u64_u32 v[22:23], s[0:1], s19, v15, v[22:23]
	v_mov_b32_e32 v7, v22
	v_lshl_add_u64 v[6:7], v[6:7], 3, v[0:1]
	global_load_dwordx2 v[22:23], v[6:7], off
	v_cmp_gt_u32_e64 s[0:1], 18, v48
                                        ; implicit-def: $vgpr31
                                        ; implicit-def: $vgpr29
	s_and_saveexec_b64 s[4:5], s[0:1]
	s_cbranch_execz .LBB0_14
; %bb.13:
	v_add_u32_e32 v15, 0xa2, v48
	v_mad_u64_u32 v[6:7], s[0:1], s18, v15, 0
	v_mov_b32_e32 v28, v7
	v_mad_u64_u32 v[28:29], s[0:1], s19, v15, v[28:29]
	v_add_u32_e32 v15, 0x156, v48
	v_mov_b32_e32 v7, v28
	v_mad_u64_u32 v[28:29], s[0:1], s18, v15, 0
	v_mov_b32_e32 v30, v29
	v_mad_u64_u32 v[30:31], s[0:1], s19, v15, v[30:31]
	v_mov_b32_e32 v29, v30
	v_add_u32_e32 v15, 0x20a, v48
	v_lshl_add_u64 v[34:35], v[28:29], 3, v[0:1]
	v_mad_u64_u32 v[28:29], s[0:1], s18, v15, 0
	v_mov_b32_e32 v30, v29
	v_mad_u64_u32 v[30:31], s[0:1], s19, v15, v[30:31]
	v_lshl_add_u64 v[6:7], v[6:7], 3, v[0:1]
	v_mov_b32_e32 v29, v30
	v_lshl_add_u64 v[0:1], v[28:29], 3, v[0:1]
	global_load_dwordx2 v[30:31], v[6:7], off
	global_load_dwordx2 v[32:33], v[34:35], off
	;; [unrolled: 1-line block ×3, first 2 shown]
.LBB0_14:
	s_or_b64 exec, exec, s[4:5]
.LBB0_15:
	s_or_b64 exec, exec, s[2:3]
	s_waitcnt vmcnt(6)
	v_pk_add_f32 v[46:47], v[10:11], v[16:17]
	v_and_b32_e32 v0, 3, v14
	v_mul_f32_e32 v45, 0.5, v46
	s_waitcnt vmcnt(0)
	v_pk_add_f32 v[6:7], v[28:29], v[32:33]
	v_mov_b32_e32 v14, v30
	v_pk_add_f32 v[34:35], v[32:33], v[28:29] neg_lo:[0,1] neg_hi:[0,1]
	v_mov_b32_e32 v44, v16
	v_pk_add_f32 v[40:41], v[16:17], v[10:11] neg_lo:[0,1] neg_hi:[0,1]
	v_pk_add_f32 v[42:43], v[24:25], v[26:27]
	v_fmac_f32_e32 v14, -0.5, v6
	v_mul_f32_e32 v6, 0x3f5db3d7, v35
	v_pk_add_f32 v[60:61], v[12:13], v[16:17]
	v_pk_add_f32 v[62:63], v[12:13], v[44:45] op_sel_hi:[0,1] neg_lo:[0,1] neg_hi:[0,1]
	v_mul_u32_u24_e32 v51, 0x21c, v0
	v_mul_f32_e32 v53, 0x3f5db3d7, v41
	v_mul_f32_e32 v55, 0.5, v42
	v_pk_add_f32 v[0:1], v[14:15], v[6:7] op_sel_hi:[0,0]
	v_mov_b32_e32 v61, v63
	v_mov_b32_e32 v52, v10
	;; [unrolled: 1-line block ×3, first 2 shown]
	v_pk_add_f32 v[36:37], v[26:27], v[24:25] neg_lo:[0,1] neg_hi:[0,1]
	v_pk_add_f32 v[38:39], v[22:23], v[20:21]
	v_pk_add_f32 v[14:15], v[14:15], v[6:7] op_sel_hi:[0,0] neg_lo:[0,1] neg_hi:[0,1]
	v_mad_u32_u24 v1, v48, 12, 0
	v_lshlrev_b32_e32 v46, 2, v51
	v_pk_add_f32 v[44:45], v[52:53], v[60:61]
	v_mad_i32_i24 v10, v49, 12, 0
	v_pk_add_f32 v[52:53], v[8:9], v[26:27]
	v_pk_add_f32 v[54:55], v[8:9], v[54:55] op_sel_hi:[0,1] neg_lo:[0,1] neg_hi:[0,1]
	v_mul_f32_e32 v57, 0x3f5db3d7, v37
	v_mul_f32_e32 v59, 0.5, v38
	v_add_u32_e32 v14, v1, v46
	v_fmac_f32_e32 v63, 0xbf5db3d7, v41
	v_mov_b32_e32 v53, v55
	v_mov_b32_e32 v56, v24
	v_add_u32_e32 v24, v10, v46
	v_fmac_f32_e32 v55, 0xbf5db3d7, v37
	v_mov_b32_e32 v58, v20
	ds_write2_b32 v14, v44, v45 offset1:1
	v_pk_add_f32 v[44:45], v[20:21], v[22:23] neg_lo:[0,1] neg_hi:[0,1]
	ds_write_b32 v14, v63 offset:8
	v_pk_add_f32 v[52:53], v[56:57], v[52:53]
	ds_write_b32 v24, v55 offset:8
	v_pk_add_f32 v[54:55], v[18:19], v[20:21]
	v_pk_add_f32 v[56:57], v[18:19], v[58:59] op_sel_hi:[0,1] neg_lo:[0,1] neg_hi:[0,1]
	ds_write2_b32 v24, v52, v53 offset1:1
	v_mul_f32_e32 v53, 0x3f5db3d7, v45
	v_mad_i32_i24 v16, v50, 12, 0
	v_mov_b32_e32 v55, v57
	v_mov_b32_e32 v52, v22
	v_pk_add_f32 v[52:53], v[52:53], v[54:55]
	v_add_u32_e32 v26, v16, v46
	v_cmp_lt_u32_e64 s[2:3], 17, v48
	v_cmp_gt_u32_e64 s[0:1], 18, v48
	v_fmac_f32_e32 v57, 0xbf5db3d7, v45
	ds_write2_b32 v26, v52, v53 offset1:1
	ds_write_b32 v26, v57 offset:8
	s_and_saveexec_b64 s[4:5], s[0:1]
	s_cbranch_execz .LBB0_17
; %bb.16:
	v_add_f32_e32 v6, v32, v30
	v_add_f32_e32 v6, v28, v6
	v_lshl_add_u32 v20, v51, 2, v1
	ds_write_b32 v20, v6 offset:1944
	v_add_u32_e32 v6, 0x79c, v20
	v_mov_b32_e32 v35, v15
	ds_write2_b32 v6, v0, v15 offset1:1
.LBB0_17:
	s_or_b64 exec, exec, s[4:5]
	v_mul_f32_e32 v53, 0.5, v47
	v_mov_b32_e32 v52, v17
	v_pk_add_f32 v[54:55], v[12:13], v[52:53] op_sel:[1,0]
	v_pk_add_f32 v[52:53], v[12:13], v[52:53] op_sel:[1,0] neg_lo:[0,1] neg_hi:[0,1]
	v_mul_f32_e32 v13, 0x3f5db3d7, v40
	v_mov_b32_e32 v12, v11
	v_pk_add_f32 v[54:55], v[54:55], v[12:13]
	v_pk_add_f32 v[56:57], v[52:53], v[12:13] neg_lo:[0,1] neg_hi:[0,1]
	v_mul_f32_e32 v13, 0.5, v43
	v_mov_b32_e32 v12, v27
	v_fmac_f32_e32 v53, 0x3f5db3d7, v40
	v_pk_add_f32 v[40:41], v[8:9], v[12:13] op_sel:[1,0]
	v_pk_add_f32 v[42:43], v[8:9], v[12:13] op_sel:[1,0] neg_lo:[0,1] neg_hi:[0,1]
	v_mul_f32_e32 v9, 0x3f5db3d7, v36
	v_mov_b32_e32 v8, v25
	v_pk_add_f32 v[40:41], v[40:41], v[8:9]
	v_pk_add_f32 v[58:59], v[42:43], v[8:9] neg_lo:[0,1] neg_hi:[0,1]
	v_mul_f32_e32 v9, 0.5, v39
	v_mov_b32_e32 v8, v21
	v_fmac_f32_e32 v43, 0x3f5db3d7, v36
	v_pk_add_f32 v[12:13], v[18:19], v[8:9] op_sel:[1,0]
	v_pk_add_f32 v[36:37], v[18:19], v[8:9] op_sel:[1,0] neg_lo:[0,1] neg_hi:[0,1]
	v_mul_f32_e32 v9, 0x3f5db3d7, v44
	v_mov_b32_e32 v8, v23
	v_mul_f32_e32 v7, 0.5, v7
	v_mov_b32_e32 v6, v33
	v_pk_add_f32 v[38:39], v[12:13], v[8:9]
	v_pk_add_f32 v[60:61], v[36:37], v[8:9] neg_lo:[0,1] neg_hi:[0,1]
	v_pk_add_f32 v[20:21], v[30:31], v[6:7] op_sel:[1,0]
	v_pk_add_f32 v[8:9], v[30:31], v[6:7] op_sel:[1,0] neg_lo:[0,1] neg_hi:[0,1]
	v_mul_f32_e32 v23, 0x3f5db3d7, v34
	v_mov_b32_e32 v21, v9
	v_mov_b32_e32 v22, v29
	v_pk_add_f32 v[6:7], v[20:21], v[22:23] neg_lo:[0,1] neg_hi:[0,1]
	s_waitcnt lgkmcnt(0)
	v_lshlrev_b32_e32 v6, 2, v48
	v_add3_u32 v47, 0, v46, v6
	v_lshlrev_b32_e32 v6, 3, v49
	v_sub_u32_e32 v6, v10, v6
	v_add_u32_e32 v51, v6, v46
	v_lshlrev_b32_e32 v6, 3, v50
	v_sub_u32_e32 v6, v16, v6
	v_add_u32_e32 v52, v6, v46
	v_lshlrev_b32_e32 v6, 3, v48
	v_sub_u32_e32 v1, v1, v6
	v_add_u32_e32 v45, v1, v46
	v_add_u32_e32 v1, 0x400, v45
	s_barrier
	ds_read2_b32 v[18:19], v45 offset0:162 offset1:216
	ds_read2_b32 v[16:17], v1 offset0:14 offset1:68
	;; [unrolled: 1-line block ×3, first 2 shown]
	ds_read_b32 v6, v47
	ds_read_b32 v8, v51
	;; [unrolled: 1-line block ×3, first 2 shown]
	ds_read_b32 v12, v45 offset:1944
	v_fmac_f32_e32 v37, 0x3f5db3d7, v44
	v_fmac_f32_e32 v9, 0x3f5db3d7, v34
	v_add_u32_e32 v44, 0xa2, v48
	s_waitcnt lgkmcnt(0)
	s_barrier
	ds_write2_b32 v14, v54, v57 offset1:1
	ds_write_b32 v14, v53 offset:8
	ds_write2_b32 v24, v40, v59 offset1:1
	ds_write_b32 v24, v43 offset:8
	;; [unrolled: 2-line block ×3, first 2 shown]
	s_and_saveexec_b64 s[4:5], s[0:1]
	s_cbranch_execz .LBB0_19
; %bb.18:
	v_mul_u32_u24_e32 v14, 12, v44
	v_pk_add_f32 v[20:21], v[20:21], v[22:23]
	v_add3_u32 v14, 0, v14, v46
	ds_write2_b32 v14, v20, v7 offset1:1
	ds_write_b32 v14, v9 offset:8
.LBB0_19:
	s_or_b64 exec, exec, s[4:5]
	s_movk_i32 s4, 0xab
	v_mul_lo_u16_sdwa v14, v48, s4 dst_sel:DWORD dst_unused:UNUSED_PAD src0_sel:BYTE_0 src1_sel:DWORD
	v_lshrrev_b16_e32 v53, 9, v14
	v_mul_lo_u16_e32 v14, 3, v53
	v_sub_u16_e32 v64, v48, v14
	v_mov_b32_e32 v14, 9
	v_mul_u32_u24_sdwa v14, v64, v14 dst_sel:DWORD dst_unused:UNUSED_PAD src0_sel:BYTE_0 src1_sel:DWORD
	v_lshlrev_b32_e32 v14, 3, v14
	s_waitcnt lgkmcnt(0)
	s_barrier
	global_load_dwordx4 v[20:23], v14, s[8:9] offset:16
	global_load_dwordx4 v[24:27], v14, s[8:9] offset:32
	global_load_dwordx4 v[28:31], v14, s[8:9]
	global_load_dwordx4 v[32:35], v14, s[8:9] offset:48
	global_load_dwordx2 v[36:37], v14, s[8:9] offset:64
	ds_read2_b32 v[38:39], v45 offset0:162 offset1:216
	ds_read2_b32 v[40:41], v1 offset0:14 offset1:68
	ds_read_b32 v14, v45 offset:1944
	s_mov_b32 s4, 0x3f737871
	s_mov_b32 s6, 0x3f167918
	;; [unrolled: 1-line block ×4, first 2 shown]
	s_waitcnt vmcnt(4)
	v_pk_mul_f32 v[42:43], v[18:19], v[20:21] op_sel_hi:[0,1]
	s_waitcnt vmcnt(3)
	v_pk_mul_f32 v[54:55], v[16:17], v[24:25] op_sel_hi:[0,1]
	v_mov_b32_e32 v56, v22
	s_waitcnt vmcnt(2)
	v_mov_b32_e32 v57, v30
	v_mov_b32_e32 v30, v23
	s_waitcnt lgkmcnt(2)
	v_pk_fma_f32 v[22:23], v[38:39], v[20:21], v[42:43] op_sel:[0,0,1] op_sel_hi:[0,1,0] neg_lo:[1,0,0] neg_hi:[1,0,0]
	v_pk_fma_f32 v[20:21], v[38:39], v[20:21], v[42:43] op_sel:[0,0,1] op_sel_hi:[0,1,0]
	v_mov_b32_e32 v42, v26
	s_waitcnt vmcnt(1)
	v_mov_b32_e32 v43, v34
	v_mov_b32_e32 v34, v27
	s_waitcnt lgkmcnt(1)
	v_pk_fma_f32 v[26:27], v[40:41], v[24:25], v[54:55] op_sel:[0,0,1] op_sel_hi:[0,1,0] neg_lo:[1,0,0] neg_hi:[1,0,0]
	v_pk_fma_f32 v[24:25], v[40:41], v[24:25], v[54:55] op_sel:[0,0,1] op_sel_hi:[0,1,0]
	s_waitcnt vmcnt(0)
	v_pk_mul_f32 v[54:55], v[12:13], v[36:37] op_sel_hi:[0,1]
	s_waitcnt lgkmcnt(0)
	v_pk_fma_f32 v[58:59], v[14:15], v[36:37], v[54:55] op_sel:[0,0,1] op_sel_hi:[0,1,0] neg_lo:[1,0,0] neg_hi:[1,0,0]
	v_pk_fma_f32 v[36:37], v[14:15], v[36:37], v[54:55] op_sel:[0,0,1] op_sel_hi:[0,1,0]
	ds_read_b32 v14, v51
	ds_read_b32 v55, v52
	v_mov_b32_e32 v12, v19
	ds_read2_b32 v[18:19], v1 offset0:122 offset1:176
	v_pk_mul_f32 v[60:61], v[10:11], v[32:33] op_sel_hi:[0,1]
	v_mov_b32_e32 v54, v39
	v_pk_mul_f32 v[38:39], v[8:9], v[28:29] op_sel_hi:[0,1]
	v_mov_b32_e32 v10, v17
	s_waitcnt lgkmcnt(0)
	v_pk_fma_f32 v[62:63], v[18:19], v[32:33], v[60:61] op_sel:[0,0,1] op_sel_hi:[0,1,0] neg_lo:[1,0,0] neg_hi:[1,0,0]
	v_pk_fma_f32 v[60:61], v[18:19], v[32:33], v[60:61] op_sel:[0,0,1] op_sel_hi:[0,1,0]
	v_pk_fma_f32 v[16:17], v[14:15], v[28:29], v[38:39] op_sel:[0,0,1] op_sel_hi:[0,1,0] neg_lo:[1,0,0] neg_hi:[1,0,0]
	v_pk_fma_f32 v[38:39], v[14:15], v[28:29], v[38:39] op_sel:[0,0,1] op_sel_hi:[0,1,0]
	v_pk_mul_f32 v[28:29], v[54:55], v[30:31]
	v_mov_b32_e32 v18, v41
	v_mov_b32_e32 v25, v27
	;; [unrolled: 1-line block ×3, first 2 shown]
	v_pk_mul_f32 v[30:31], v[12:13], v[30:31]
	v_mov_b32_e32 v39, v17
	v_pk_mul_f32 v[16:17], v[10:11], v[34:35]
	v_mov_b32_e32 v21, v23
	v_mov_b32_e32 v37, v59
	v_pk_fma_f32 v[26:27], v[12:13], v[56:57], v[28:29] neg_lo:[0,0,1] neg_hi:[0,0,1]
	v_pk_mul_f32 v[12:13], v[18:19], v[34:35]
	v_pk_add_f32 v[34:35], v[24:25], v[60:61]
	v_pk_fma_f32 v[30:31], v[54:55], v[56:57], v[30:31]
	v_pk_fma_f32 v[32:33], v[18:19], v[42:43], v[16:17]
	v_pk_add_f32 v[16:17], v[38:39], v[20:21]
	v_pk_add_f32 v[22:23], v[20:21], v[36:37] neg_lo:[0,1] neg_hi:[0,1]
	v_pk_add_f32 v[56:57], v[20:21], v[36:37]
	v_pk_fma_f32 v[28:29], v[10:11], v[42:43], v[12:13] neg_lo:[0,0,1] neg_hi:[0,0,1]
	v_pk_fma_f32 v[12:13], v[34:35], 0.5, v[38:39] op_sel_hi:[1,0,1] neg_lo:[1,0,0] neg_hi:[1,0,0]
	v_pk_add_f32 v[18:19], v[24:25], v[60:61] neg_lo:[0,1] neg_hi:[0,1]
	v_pk_add_f32 v[40:41], v[20:21], v[24:25] neg_lo:[0,1] neg_hi:[0,1]
	;; [unrolled: 1-line block ×3, first 2 shown]
	v_pk_add_f32 v[10:11], v[16:17], v[24:25]
	v_pk_fma_f32 v[16:17], v[56:57], 0.5, v[38:39] op_sel_hi:[1,0,1] neg_lo:[1,0,0] neg_hi:[1,0,0]
	v_pk_fma_f32 v[34:35], v[22:23], s[4:5], v[12:13] op_sel:[1,0,0] op_sel_hi:[0,0,1] neg_lo:[1,0,0] neg_hi:[1,0,0]
	v_pk_fma_f32 v[12:13], v[22:23], s[4:5], v[12:13] op_sel:[1,0,0] op_sel_hi:[0,0,1]
	v_pk_add_f32 v[20:21], v[24:25], v[20:21] neg_lo:[0,1] neg_hi:[0,1]
	v_pk_add_f32 v[58:59], v[60:61], v[36:37] neg_lo:[0,1] neg_hi:[0,1]
	v_pk_add_f32 v[24:25], v[40:41], v[54:55]
	v_pk_add_f32 v[10:11], v[10:11], v[60:61]
	v_pk_fma_f32 v[38:39], v[18:19], s[4:5], v[16:17] op_sel:[1,0,0] op_sel_hi:[0,0,1]
	v_pk_fma_f32 v[40:41], v[18:19], s[4:5], v[16:17] op_sel:[1,0,0] op_sel_hi:[0,0,1] neg_lo:[1,0,0] neg_hi:[1,0,0]
	v_pk_fma_f32 v[12:13], v[18:19], s[6:7], v[12:13] op_sel:[1,0,0] op_sel_hi:[0,0,1]
	v_pk_add_f32 v[20:21], v[20:21], v[58:59]
	v_pk_add_f32 v[16:17], v[10:11], v[36:37]
	v_pk_fma_f32 v[10:11], v[18:19], s[6:7], v[34:35] op_sel:[1,0,0] op_sel_hi:[0,0,1] neg_lo:[1,0,0] neg_hi:[1,0,0]
	v_pk_fma_f32 v[18:19], v[22:23], s[6:7], v[38:39] op_sel:[1,0,0] op_sel_hi:[0,0,1] neg_lo:[1,0,0] neg_hi:[1,0,0]
	v_pk_fma_f32 v[22:23], v[22:23], s[6:7], v[40:41] op_sel:[1,0,0] op_sel_hi:[0,0,1]
	v_pk_fma_f32 v[40:41], v[24:25], s[12:13], v[12:13] op_sel_hi:[1,0,1]
	v_pk_add_f32 v[12:13], v[26:27], v[28:29]
	v_pk_fma_f32 v[36:37], v[24:25], s[12:13], v[10:11] op_sel_hi:[1,0,1]
	v_pk_fma_f32 v[34:35], v[20:21], s[12:13], v[18:19] op_sel_hi:[1,0,1]
	;; [unrolled: 1-line block ×3, first 2 shown]
	v_pk_add_f32 v[10:11], v[30:31], v[32:33] neg_lo:[0,1] neg_hi:[0,1]
	v_pk_fma_f32 v[12:13], v[12:13], 0.5, v[6:7] op_sel_hi:[1,0,0] neg_lo:[1,0,0] neg_hi:[1,0,0]
	v_pk_add_f32 v[20:21], v[26:27], v[26:27] op_sel:[0,1] op_sel_hi:[1,0] neg_lo:[0,1] neg_hi:[0,1]
	v_pk_add_f32 v[22:23], v[28:29], v[28:29] op_sel:[0,1] op_sel_hi:[1,0] neg_lo:[0,1] neg_hi:[0,1]
	v_pk_mul_f32 v[18:19], v[10:11], s[6:7] op_sel_hi:[1,0]
	v_pk_add_f32 v[20:21], v[20:21], v[22:23]
	v_pk_fma_f32 v[22:23], v[10:11], s[4:5], v[12:13] op_sel:[0,0,1] op_sel_hi:[1,0,0] neg_lo:[1,0,0] neg_hi:[1,0,0]
	v_pk_fma_f32 v[10:11], v[10:11], s[4:5], v[12:13] op_sel:[0,0,1] op_sel_hi:[1,0,0]
	v_mov_b32_e32 v13, v23
	v_mov_b32_e32 v12, v10
	v_mov_b32_e32 v24, v35
	v_mov_b32_e32 v25, v37
	v_add_f32_e32 v8, v6, v27
	v_pk_add_f32 v[12:13], v[12:13], v[18:19] op_sel:[0,1] op_sel_hi:[1,0] neg_lo:[0,1] neg_hi:[0,1]
	v_pk_mul_f32 v[24:25], v[24:25], s[12:13]
	v_mov_b32_e32 v42, v38
	v_mov_b32_e32 v43, v40
	s_mov_b32 s5, s6
	v_mov_b32_e32 v23, v11
	v_add_f32_e32 v8, v8, v26
	v_pk_fma_f32 v[12:13], v[20:21], s[12:13], v[12:13] op_sel_hi:[1,0,1]
	v_pk_fma_f32 v[24:25], v[42:43], s[4:5], v[24:25] neg_lo:[0,0,1] neg_hi:[0,0,1]
	v_mov_b32_e32 v56, v34
	v_mov_b32_e32 v57, v36
	v_pk_add_f32 v[10:11], v[18:19], v[22:23] op_sel:[1,0] op_sel_hi:[0,1]
	v_add_f32_e32 v8, v8, v28
	v_pk_add_f32 v[42:43], v[12:13], v[24:25]
	v_mov_b32_e32 v54, v39
	v_mov_b32_e32 v55, v41
	v_pk_mul_f32 v[56:57], v[56:57], s[4:5]
	v_pk_fma_f32 v[10:11], v[20:21], s[12:13], v[10:11] op_sel_hi:[1,0,1]
	v_pk_add_f32 v[20:21], v[12:13], v[24:25] neg_lo:[0,1] neg_hi:[0,1]
	s_movk_i32 s4, 0x78
	v_mov_b32_e32 v12, 2
	v_add_f32_e32 v8, v8, v29
	v_pk_fma_f32 v[54:55], v[54:55], s[12:13], v[56:57]
	v_mad_u32_u24 v6, v53, s4, 0
	v_lshlrev_b32_sdwa v12, v12, v64 dst_sel:DWORD dst_unused:UNUSED_PAD src0_sel:DWORD src1_sel:BYTE_0
	v_add_f32_e32 v58, v8, v17
	v_pk_add_f32 v[18:19], v[10:11], v[54:55]
	v_add3_u32 v6, v6, v12, v46
	ds_read_b32 v14, v47
	v_sub_f32_e32 v8, v8, v17
	v_pk_add_f32 v[10:11], v[10:11], v[54:55] neg_lo:[0,1] neg_hi:[0,1]
	s_waitcnt lgkmcnt(0)
	s_barrier
	ds_write2_b32 v6, v58, v19 offset1:3
	ds_write2_b32 v6, v18, v42 offset0:6 offset1:9
	ds_write2_b32 v6, v43, v8 offset0:12 offset1:15
	;; [unrolled: 1-line block ×4, first 2 shown]
	s_waitcnt lgkmcnt(0)
	s_barrier
	ds_read2_b32 v[24:25], v45 offset0:90 offset1:180
	ds_read2_b32 v[22:23], v1 offset0:14 offset1:104
	ds_read_b32 v1, v47
	ds_read_b32 v53, v45 offset:1800
	v_cmp_lt_u32_e64 s[4:5], 35, v48
                                        ; implicit-def: $vgpr8
                                        ; implicit-def: $vgpr12_vgpr13
                                        ; implicit-def: $vgpr18_vgpr19
	s_and_saveexec_b64 s[6:7], s[4:5]
	s_xor_b64 s[6:7], exec, s[6:7]
; %bb.20:
	v_mov_b32_e32 v8, v15
	v_mov_b64_e32 v[12:13], v[10:11]
	v_mov_b64_e32 v[18:19], v[20:21]
; %bb.21:
	s_or_saveexec_b64 s[6:7], s[6:7]
	v_mov_b32_e32 v42, v41
	v_mov_b32_e32 v43, v40
	;; [unrolled: 1-line block ×4, first 2 shown]
	s_xor_b64 exec, exec, s[6:7]
	s_cbranch_execz .LBB0_23
; %bb.22:
	ds_read2_b32 v[10:11], v45 offset0:144 offset1:234
	v_add_u32_e32 v0, 0x400, v45
	ds_read2_b32 v[20:21], v0 offset0:68 offset1:158
	ds_read_b32 v13, v51
	ds_read_b32 v8, v45 offset:2016
	s_waitcnt lgkmcnt(2)
	v_mov_b32_e32 v19, v20
	v_mov_b32_e32 v18, v11
	v_mov_b32_e32 v12, v10
	v_mov_b32_e32 v0, v21
	v_mov_b32_e32 v20, v11
	s_waitcnt lgkmcnt(1)
	v_mov_b32_e32 v11, v13
.LBB0_23:
	s_or_b64 exec, exec, s[6:7]
	s_mov_b32 s6, 0x3f4f1bbd
	s_mov_b32 s7, 0xbf167918
	;; [unrolled: 1-line block ×4, first 2 shown]
	v_pk_mul_f32 v[38:39], v[42:43], s[12:13]
	s_mov_b32 s13, 0xbe9e377a
	v_pk_fma_f32 v[36:37], v[36:37], s[6:7], v[38:39]
	s_mov_b32 s6, 0x3e9e377a
	s_mov_b32 s7, 0xbf737871
	;; [unrolled: 1-line block ×3, first 2 shown]
	v_add_f32_e32 v10, v14, v31
	v_pk_mul_f32 v[38:39], v[40:41], s[12:13]
	v_add_f32_e32 v10, v10, v30
	v_pk_fma_f32 v[34:35], v[34:35], s[6:7], v[38:39]
	v_add_f32_e32 v10, v10, v32
	v_pk_add_f32 v[38:39], v[30:31], v[32:33]
	v_mov_b32_e32 v40, v31
	v_mov_b32_e32 v41, v33
	;; [unrolled: 1-line block ×3, first 2 shown]
	v_add_f32_e32 v17, v10, v33
	v_pk_add_f32 v[32:33], v[40:41], v[30:31] neg_lo:[0,1] neg_hi:[0,1]
	v_pk_add_f32 v[30:31], v[30:31], v[40:41] neg_lo:[0,1] neg_hi:[0,1]
	v_mul_f32_e32 v38, 0.5, v38
	v_add_f32_e32 v15, v30, v31
	v_add_f32_e32 v10, v32, v33
	v_mul_f32_e32 v32, 0.5, v39
	v_mul_f32_e32 v30, 0x3e9e377a, v15
	v_mov_b32_e32 v15, v26
	v_mov_b32_e32 v39, v28
	v_pk_add_f32 v[38:39], v[14:15], v[38:39] neg_lo:[0,1] neg_hi:[0,1]
	v_mov_b32_e32 v15, v27
	v_mov_b32_e32 v33, v29
	v_pk_add_f32 v[14:15], v[14:15], v[32:33] neg_lo:[0,1] neg_hi:[0,1]
	s_mov_b32 s7, 0x3f167918
	v_mul_f32_e32 v28, 0x3f737871, v15
	v_mov_b32_e32 v29, 0x3f167918
	v_pk_mul_f32 v[32:33], v[38:39], s[6:7]
	v_pk_add_f32 v[40:41], v[38:39], v[28:29] neg_lo:[0,1] neg_hi:[0,1]
	v_fmamk_f32 v43, v15, 0x3f737871, v38
	v_mov_b32_e32 v42, v33
	v_pk_fma_f32 v[32:33], v[38:39], v[28:29], v[42:43]
	v_pk_add_f32 v[40:41], v[40:41], v[42:43] neg_lo:[0,1] neg_hi:[0,1]
	v_mul_f32_e32 v10, 0x3e9e377a, v10
	v_mul_f32_e32 v26, 0x3f737871, v39
	v_mov_b32_e32 v41, v33
	v_mov_b32_e32 v27, v29
	v_pk_mul_f32 v[28:29], v[14:15], s[6:7]
	v_pk_add_f32 v[32:33], v[10:11], v[40:41] op_sel_hi:[0,1]
	v_pk_add_f32 v[40:41], v[14:15], v[26:27]
	v_fmamk_f32 v39, v39, 0xbf737871, v14
	v_mov_b32_e32 v38, v29
	v_pk_fma_f32 v[14:15], v[14:15], v[26:27], v[38:39]
	v_pk_add_f32 v[26:27], v[40:41], v[38:39] neg_lo:[0,1] neg_hi:[0,1]
	v_add_f32_e32 v21, v17, v16
	v_mov_b32_e32 v27, v15
	v_pk_add_f32 v[14:15], v[30:31], v[26:27] op_sel_hi:[0,1]
	v_pk_add_f32 v[26:27], v[32:33], v[36:37]
	v_pk_add_f32 v[28:29], v[14:15], v[34:35]
	v_sub_f32_e32 v10, v17, v16
	v_pk_add_f32 v[14:15], v[14:15], v[34:35] neg_lo:[0,1] neg_hi:[0,1]
	v_pk_add_f32 v[16:17], v[32:33], v[36:37] neg_lo:[0,1] neg_hi:[0,1]
	s_waitcnt lgkmcnt(0)
	s_barrier
	ds_write2_b32 v6, v21, v26 offset1:3
	ds_write2_b32 v6, v28, v29 offset0:6 offset1:9
	ds_write2_b32 v6, v27, v10 offset0:12 offset1:15
	ds_write2_b32 v6, v16, v14 offset0:18 offset1:21
	ds_write2_b32 v6, v15, v17 offset0:24 offset1:27
	v_add_u32_e32 v6, 0x400, v45
	s_waitcnt lgkmcnt(0)
	s_barrier
	ds_read2_b32 v[28:29], v45 offset0:90 offset1:180
	ds_read2_b32 v[26:27], v6 offset0:14 offset1:104
	ds_read_b32 v32, v47
	ds_read_b32 v10, v45 offset:1800
	s_and_saveexec_b64 s[6:7], s[4:5]
	s_xor_b64 s[6:7], exec, s[6:7]
	s_andn2_saveexec_b64 s[6:7], s[6:7]
	s_cbranch_execz .LBB0_25
; %bb.24:
	ds_read2_b32 v[14:15], v45 offset0:144 offset1:234
	v_add_u32_e32 v6, 0x400, v45
	ds_read2_b32 v[6:7], v6 offset0:68 offset1:158
	ds_read_b32 v16, v51
	ds_read_b32 v9, v45 offset:2016
	s_waitcnt lgkmcnt(2)
	v_mov_b32_e32 v17, v6
.LBB0_25:
	s_or_b64 exec, exec, s[6:7]
	v_subrev_u32_e32 v6, 30, v48
	v_cmp_gt_u32_e64 s[6:7], 30, v48
	v_mov_b32_e32 v31, 0
	s_nop 0
	v_cndmask_b32_e64 v72, v6, v48, s[6:7]
	s_movk_i32 s6, 0x89
	v_mul_i32_i24_e32 v30, 5, v72
	v_mul_lo_u16_sdwa v21, v49, s6 dst_sel:DWORD dst_unused:UNUSED_PAD src0_sel:BYTE_0 src1_sel:DWORD
	v_lshl_add_u64 v[30:31], v[30:31], 3, s[8:9]
	v_lshrrev_b16_e32 v33, 12, v21
	global_load_dwordx4 v[54:57], v[30:31], off offset:216
	global_load_dwordx4 v[58:61], v[30:31], off offset:232
	global_load_dwordx2 v[70:71], v[30:31], off offset:248
	v_mul_lo_u16_e32 v21, 30, v33
	v_mov_b32_e32 v6, 5
	v_sub_u16_e32 v34, v49, v21
	v_mul_u32_u24_sdwa v6, v34, v6 dst_sel:DWORD dst_unused:UNUSED_PAD src0_sel:BYTE_0 src1_sel:DWORD
	v_lshlrev_b32_e32 v6, 3, v6
	global_load_dwordx4 v[62:65], v6, s[8:9] offset:216
	global_load_dwordx4 v[66:69], v6, s[8:9] offset:232
	global_load_dwordx2 v[30:31], v6, s[8:9] offset:248
	s_waitcnt lgkmcnt(0)
	v_mov_b32_e32 v6, v9
	s_mov_b32 s6, 0x3f5db3d7
	s_barrier
	s_waitcnt vmcnt(5)
	v_mul_f32_e32 v9, v28, v55
	v_mul_f32_e32 v35, v24, v55
	v_mul_f32_e32 v21, v29, v57
	s_waitcnt vmcnt(4)
	v_mul_f32_e32 v42, v26, v59
	v_mul_f32_e32 v36, v22, v59
	v_mul_f32_e32 v43, v27, v61
	;; [unrolled: 4-line block ×3, first 2 shown]
	v_mul_f32_e32 v40, v23, v61
	v_fma_f32 v37, v24, v54, -v9
	v_fma_f32 v41, v25, v56, -v21
	;; [unrolled: 1-line block ×3, first 2 shown]
	v_fmac_f32_e32 v36, v26, v58
	v_fma_f32 v42, v23, v60, -v43
	v_fma_f32 v21, v53, v70, -v55
	v_fmac_f32_e32 v38, v10, v70
	v_fmac_f32_e32 v35, v28, v54
	;; [unrolled: 1-line block ×4, first 2 shown]
	v_add_f32_e32 v22, v41, v42
	v_add_f32_e32 v28, v9, v21
	;; [unrolled: 1-line block ×4, first 2 shown]
	v_sub_f32_e32 v53, v39, v40
	v_add_f32_e32 v23, v37, v9
	v_sub_f32_e32 v54, v36, v38
	v_sub_f32_e32 v55, v9, v21
	s_waitcnt vmcnt(1)
	v_mul_f32_e32 v9, v7, v69
	v_fmac_f32_e32 v1, -0.5, v22
	v_fmac_f32_e32 v37, -0.5, v28
	v_fma_f32 v43, -0.5, v29, v35
	v_mul_f32_e32 v26, v0, v69
	v_add_f32_e32 v10, v10, v42
	v_add_f32_e32 v56, v23, v21
	v_pk_mul_f32 v[22:23], v[16:17], v[66:67] op_sel:[1,0]
	s_waitcnt vmcnt(0)
	v_pk_mul_f32 v[28:29], v[6:7], v[30:31] op_sel_hi:[0,1]
	v_fma_f32 v9, v0, v68, -v9
	v_fmamk_f32 v0, v53, 0x3f5db3d7, v1
	v_fmac_f32_e32 v1, 0xbf5db3d7, v53
	v_fmamk_f32 v53, v54, 0x3f5db3d7, v37
	v_fmac_f32_e32 v37, 0xbf5db3d7, v54
	v_fmamk_f32 v17, v55, 0xbf5db3d7, v43
	v_mul_f32_e32 v25, v20, v64
	v_mul_f32_e32 v24, v20, v65
	v_pk_mul_f32 v[20:21], v[14:15], v[62:63] op_sel_hi:[0,1]
	v_fmac_f32_e32 v26, v7, v68
	v_fmac_f32_e32 v43, 0x3f5db3d7, v55
	v_add_f32_e32 v57, v10, v56
	v_sub_f32_e32 v56, v10, v56
	v_pk_fma_f32 v[54:55], v[18:19], v[66:67], v[22:23] op_sel:[1,0,1] op_sel_hi:[1,1,0] neg_lo:[0,0,1] neg_hi:[0,0,1]
	v_pk_fma_f32 v[18:19], v[18:19], v[66:67], v[22:23] op_sel:[1,0,1] op_sel_hi:[1,1,0]
	v_pk_fma_f32 v[6:7], v[8:9], v[30:31], v[28:29] op_sel:[0,0,1] op_sel_hi:[0,1,0] neg_lo:[0,0,1] neg_hi:[0,0,1]
	v_pk_fma_f32 v[22:23], v[8:9], v[30:31], v[28:29] op_sel:[0,0,1] op_sel_hi:[0,1,0]
	v_mul_f32_e32 v8, 0x3f5db3d7, v17
	v_mul_f32_e32 v10, -0.5, v37
	v_mul_f32_e32 v27, v15, v65
	v_fmac_f32_e32 v24, v15, v64
	v_pk_fma_f32 v[14:15], v[12:13], v[62:63], v[20:21] op_sel:[0,0,1] op_sel_hi:[1,1,0] neg_lo:[0,0,1] neg_hi:[0,0,1]
	v_pk_fma_f32 v[20:21], v[12:13], v[62:63], v[20:21] op_sel:[0,0,1] op_sel_hi:[0,1,0]
	v_mov_b32_e32 v55, v19
	v_mov_b32_e32 v7, v23
	v_fmac_f32_e32 v8, 0.5, v53
	v_fmac_f32_e32 v10, 0x3f5db3d7, v43
	v_mov_b32_e32 v15, v21
	v_add_f32_e32 v58, v0, v8
	v_add_f32_e32 v59, v1, v10
	v_sub_f32_e32 v60, v0, v8
	v_sub_f32_e32 v61, v1, v10
	v_pk_add_f32 v[0:1], v[54:55], v[6:7]
	v_pk_add_f32 v[18:19], v[14:15], v[54:55]
	v_pk_fma_f32 v[0:1], -0.5, v[0:1], v[14:15] op_sel_hi:[0,1,1]
	v_pk_add_f32 v[14:15], v[54:55], v[6:7] neg_lo:[0,1] neg_hi:[0,1]
	v_pk_add_f32 v[22:23], v[24:25], v[26:27] neg_lo:[0,1] neg_hi:[0,1]
	v_pk_mul_f32 v[20:21], v[14:15], s[6:7] op_sel_hi:[1,0]
	v_pk_fma_f32 v[30:31], v[14:15], s[6:7], v[0:1] op_sel:[0,0,1] op_sel_hi:[1,0,0]
	v_pk_add_f32 v[28:29], v[0:1], v[20:21] op_sel:[0,1] op_sel_hi:[1,0] neg_lo:[0,1] neg_hi:[0,1]
	v_add_f32_e32 v1, v23, v9
	v_mov_b32_e32 v14, 0x3f5db3d7
	v_mov_b32_e32 v15, v13
	v_fmac_f32_e32 v11, -0.5, v1
	v_pk_mul_f32 v[14:15], v[14:15], v[22:23]
	v_pk_add_f32 v[12:13], v[12:13], v[22:23]
	v_mov_b32_e32 v8, v11
	v_mov_b32_e32 v15, v13
	v_pk_add_f32 v[12:13], v[14:15], v[8:9]
	v_sub_f32_e32 v8, v11, v14
	v_mov_b32_e32 v11, v6
	v_mov_b32_e32 v6, 0x2d0
	v_cmp_lt_u32_e64 s[6:7], 29, v48
	v_mul_f32_e32 v0, 0.5, v31
	v_mul_f32_e32 v10, 0x3f5db3d7, v29
	v_mov_b32_e32 v1, v18
	v_cndmask_b32_e64 v6, 0, v6, s[6:7]
	v_pk_add_f32 v[10:11], v[0:1], v[10:11]
	v_mul_f32_e32 v14, -0.5, v28
	v_add_u32_e32 v6, 0, v6
	v_lshlrev_b32_e32 v15, 2, v72
	v_fmac_f32_e32 v14, 0x3f5db3d7, v30
	v_pk_add_f32 v[0:1], v[12:13], v[10:11] neg_lo:[0,1] neg_hi:[0,1]
	v_add3_u32 v54, v6, v15, v46
	ds_write2_b32 v54, v57, v58 offset1:30
	ds_write2_b32 v54, v59, v56 offset0:60 offset1:90
	ds_write2_b32 v54, v60, v61 offset0:120 offset1:150
	s_and_saveexec_b64 s[6:7], s[4:5]
	s_xor_b64 s[6:7], exec, s[6:7]
; %bb.26:
                                        ; implicit-def: $vgpr12_vgpr13
                                        ; implicit-def: $vgpr10_vgpr11
; %bb.27:
	s_or_saveexec_b64 s[6:7], s[6:7]
	v_sub_f32_e32 v6, v8, v14
	s_xor_b64 exec, exec, s[6:7]
	s_cbranch_execz .LBB0_29
; %bb.28:
	v_pk_add_f32 v[10:11], v[12:13], v[10:11]
	s_movk_i32 s12, 0x2d0
	v_mov_b32_e32 v13, 2
	v_mad_u32_u24 v12, v33, s12, 0
	v_lshlrev_b32_sdwa v13, v13, v34 dst_sel:DWORD dst_unused:UNUSED_PAD src0_sel:DWORD src1_sel:BYTE_0
	v_add3_u32 v12, v12, v13, v46
	v_add_f32_e32 v8, v8, v14
	ds_write2_b32 v12, v11, v10 offset1:30
	ds_write2_b32 v12, v8, v1 offset0:60 offset1:90
	ds_write2_b32 v12, v0, v6 offset0:120 offset1:150
.LBB0_29:
	s_or_b64 exec, exec, s[6:7]
	v_add_u32_e32 v8, 0x400, v45
	s_waitcnt lgkmcnt(0)
	s_barrier
	ds_read2_b32 v[20:21], v45 offset0:180 offset1:234
	ds_read2_b32 v[14:15], v8 offset0:32 offset1:104
	;; [unrolled: 1-line block ×3, first 2 shown]
	ds_read_b32 v22, v47
	ds_read_b32 v18, v51
	;; [unrolled: 1-line block ×3, first 2 shown]
	s_and_saveexec_b64 s[6:7], s[2:3]
	s_xor_b64 s[6:7], exec, s[6:7]
	s_andn2_saveexec_b64 s[6:7], s[6:7]
	s_cbranch_execz .LBB0_31
; %bb.30:
	v_add_u32_e32 v0, 0x200, v45
	ds_read2_b32 v[10:11], v0 offset0:34 offset1:214
	ds_read_b32 v6, v45 offset:2088
	s_waitcnt lgkmcnt(1)
	v_mov_b32_e32 v0, v11
	v_mov_b32_e32 v1, v10
.LBB0_31:
	s_or_b64 exec, exec, s[6:7]
	v_add_f32_e32 v11, v39, v40
	v_add_f32_e32 v10, v32, v39
	v_fmac_f32_e32 v32, -0.5, v11
	v_sub_f32_e32 v11, v41, v42
	v_fmamk_f32 v25, v11, 0xbf5db3d7, v32
	v_fmac_f32_e32 v32, 0x3f5db3d7, v11
	v_add_f32_e32 v11, v35, v36
	v_mul_f32_e32 v27, 0xbf5db3d7, v53
	v_add_f32_e32 v10, v10, v40
	v_add_f32_e32 v11, v11, v38
	v_fmac_f32_e32 v27, 0.5, v17
	v_mul_f32_e32 v17, -0.5, v43
	v_add_f32_e32 v35, v10, v11
	v_fmac_f32_e32 v17, 0xbf5db3d7, v37
	v_sub_f32_e32 v38, v10, v11
	v_add_f32_e32 v10, v16, v24
	v_add_f32_e32 v37, v32, v17
	v_sub_f32_e32 v32, v32, v17
	v_add_f32_e32 v17, v10, v26
	v_add_f32_e32 v10, v24, v26
	v_sub_f32_e32 v9, v23, v9
	s_mov_b32 s12, 0xbf5db3d7
	v_fmac_f32_e32 v16, -0.5, v10
	v_mul_f32_e32 v10, 0x3f5db3d7, v9
	s_mov_b32 s6, -0.5
	s_mov_b32 s13, 0.5
	v_add_f32_e32 v36, v25, v27
	v_sub_f32_e32 v39, v25, v27
	v_pk_add_f32 v[24:25], v[16:17], v[10:11]
	v_pk_add_f32 v[10:11], v[16:17], v[10:11] neg_lo:[0,1] neg_hi:[0,1]
	s_mov_b32 s7, s12
	v_mov_b32_e32 v25, v10
	v_pk_mul_f32 v[10:11], v[30:31], s[6:7]
	v_add_f32_e32 v7, v19, v7
	v_pk_fma_f32 v[26:27], v[28:29], s[12:13], v[10:11]
	s_waitcnt lgkmcnt(0)
	v_pk_add_f32 v[10:11], v[24:25], v[26:27] neg_lo:[0,1] neg_hi:[0,1]
	s_barrier
	ds_write2_b32 v54, v35, v36 offset1:30
	ds_write2_b32 v54, v37, v38 offset0:60 offset1:90
	ds_write2_b32 v54, v39, v32 offset0:120 offset1:150
	s_and_saveexec_b64 s[6:7], s[4:5]
	s_xor_b64 s[4:5], exec, s[6:7]
; %bb.32:
                                        ; implicit-def: $vgpr24_vgpr25
                                        ; implicit-def: $vgpr26_vgpr27
                                        ; implicit-def: $vgpr33
                                        ; implicit-def: $vgpr34
                                        ; implicit-def: $vgpr46
; %bb.33:
	s_or_saveexec_b64 s[4:5], s[4:5]
	v_sub_f32_e32 v16, v17, v7
	s_xor_b64 exec, exec, s[4:5]
	s_cbranch_execz .LBB0_35
; %bb.34:
	v_add_f32_e32 v7, v17, v7
	s_movk_i32 s6, 0x2d0
	v_mov_b32_e32 v17, 2
	v_mad_u32_u24 v9, v33, s6, 0
	v_lshlrev_b32_sdwa v17, v17, v34 dst_sel:DWORD dst_unused:UNUSED_PAD src0_sel:DWORD src1_sel:BYTE_0
	v_pk_add_f32 v[24:25], v[24:25], v[26:27]
	v_add3_u32 v9, v9, v17, v46
	ds_write2_b32 v9, v7, v25 offset1:30
	ds_write2_b32 v9, v24, v16 offset0:60 offset1:90
	ds_write2_b32 v9, v11, v10 offset0:120 offset1:150
.LBB0_35:
	s_or_b64 exec, exec, s[4:5]
	v_add_u32_e32 v7, 0x400, v45
	s_waitcnt lgkmcnt(0)
	s_barrier
	ds_read2_b32 v[30:31], v45 offset0:180 offset1:234
	ds_read2_b32 v[26:27], v7 offset0:32 offset1:104
	;; [unrolled: 1-line block ×3, first 2 shown]
	ds_read_b32 v23, v47
	ds_read_b32 v19, v51
	;; [unrolled: 1-line block ×3, first 2 shown]
	s_and_saveexec_b64 s[4:5], s[2:3]
	s_xor_b64 s[2:3], exec, s[4:5]
	s_cbranch_execnz .LBB0_39
; %bb.36:
	s_andn2_saveexec_b64 s[2:3], s[2:3]
	s_cbranch_execnz .LBB0_40
.LBB0_37:
	s_or_b64 exec, exec, s[2:3]
	s_and_saveexec_b64 s[2:3], vcc
	s_cbranch_execnz .LBB0_41
.LBB0_38:
	s_endpgm
.LBB0_39:
                                        ; implicit-def: $vgpr45
	s_andn2_saveexec_b64 s[2:3], s[2:3]
	s_cbranch_execz .LBB0_37
.LBB0_40:
	v_add_u32_e32 v7, 0x200, v45
	ds_read2_b32 v[16:17], v7 offset0:34 offset1:214
	ds_read_b32 v10, v45 offset:2088
	s_waitcnt lgkmcnt(1)
	v_mov_b32_e32 v11, v17
	s_or_b64 exec, exec, s[2:3]
	s_and_saveexec_b64 s[2:3], vcc
	s_cbranch_execz .LBB0_38
.LBB0_41:
	v_lshlrev_b32_e32 v28, 1, v50
	v_mov_b32_e32 v29, 0
	v_lshl_add_u64 v[40:41], v[28:29], 3, s[8:9]
	v_lshlrev_b32_e32 v28, 1, v49
	v_lshl_add_u64 v[36:37], v[28:29], 3, s[8:9]
	v_lshlrev_b32_e32 v28, 1, v48
	v_lshl_add_u64 v[32:33], v[28:29], 3, s[8:9]
	global_load_dwordx4 v[32:35], v[32:33], off offset:1416
	v_mul_lo_u32 v7, s11, v4
	v_mul_lo_u32 v17, s10, v5
	v_mad_u64_u32 v[4:5], s[2:3], s10, v4, 0
	v_lshrrev_b32_e32 v38, 2, v48
	s_mov_b32 s4, 0x16c16c17
	v_add3_u32 v5, v5, v17, v7
	v_mul_hi_u32 v7, v38, s4
	global_load_dwordx4 v[36:39], v[36:37], off offset:1416
	v_mov_b32_e32 v46, v15
	global_load_dwordx4 v[40:43], v[40:41], off offset:1416
	v_mov_b32_e32 v50, v15
	v_add_u32_e32 v15, 54, v48
	v_lshrrev_b32_e32 v17, 2, v15
	s_movk_i32 s3, 0xb4
	v_lshrrev_b32_e32 v7, 2, v7
	v_mul_hi_u32 v17, v17, s4
	v_mul_lo_u32 v7, v7, s3
	v_lshrrev_b32_e32 v17, 2, v17
	s_waitcnt lgkmcnt(4)
	v_mov_b32_e32 v28, v27
	v_lshl_add_u64 v[4:5], v[4:5], 3, s[14:15]
	v_sub_u32_e32 v7, v48, v7
	v_mul_lo_u32 v27, v17, s3
	s_movk_i32 s5, 0x21c
	v_lshl_add_u64 v[2:3], v[2:3], 3, v[4:5]
	v_mad_u64_u32 v[4:5], s[6:7], s16, v7, 0
	v_add_u32_e32 v45, 0xb4, v7
	v_add_u32_e32 v47, 0x168, v7
	v_sub_u32_e32 v52, v15, v27
	v_mov_b32_e32 v54, v5
	v_mad_u64_u32 v[56:57], s[6:7], s16, v45, 0
	v_mad_u64_u32 v[58:59], s[6:7], s16, v47, 0
	;; [unrolled: 1-line block ×4, first 2 shown]
	v_mov_b32_e32 v60, v57
	v_mov_b32_e32 v62, v59
	v_mad_u64_u32 v[64:65], s[6:7], s16, v52, 0
	v_mov_b32_e32 v5, v54
	v_mad_u64_u32 v[54:55], s[6:7], s17, v45, v[60:61]
	v_mad_u64_u32 v[60:61], s[6:7], s17, v47, v[62:63]
	v_mov_b32_e32 v62, v65
	v_mov_b32_e32 v57, v54
	v_mad_u64_u32 v[54:55], s[6:7], s17, v52, v[62:63]
	v_mov_b32_e32 v59, v60
	v_mov_b32_e32 v65, v54
	v_lshl_add_u64 v[54:55], v[64:65], 3, v[2:3]
	s_mov_b32 s2, 0x3f5db3d7
	v_add_u32_e32 v7, 0xb4, v52
	v_lshl_add_u64 v[4:5], v[4:5], 3, v[2:3]
	v_mad_u64_u32 v[66:67], s[6:7], s16, v7, 0
	v_lshl_add_u64 v[56:57], v[56:57], 3, v[2:3]
	v_lshl_add_u64 v[58:59], v[58:59], 3, v[2:3]
	s_waitcnt vmcnt(2)
	v_pk_mul_f32 v[60:61], v[30:31], v[32:33] op_sel_hi:[0,1]
	v_pk_mul_f32 v[62:63], v[28:29], v[34:35] op_sel_hi:[0,1]
	v_pk_fma_f32 v[64:65], v[20:21], v[32:33], v[60:61] op_sel:[0,0,1] op_sel_hi:[1,1,0] neg_lo:[0,0,1] neg_hi:[0,0,1]
	v_pk_fma_f32 v[32:33], v[20:21], v[32:33], v[60:61] op_sel:[0,0,1] op_sel_hi:[0,1,0]
	v_pk_fma_f32 v[46:47], v[46:47], v[34:35], v[62:63] op_sel:[0,0,1] op_sel_hi:[1,1,0] neg_lo:[0,0,1] neg_hi:[0,0,1]
	v_pk_fma_f32 v[34:35], v[50:51], v[34:35], v[62:63] op_sel:[0,0,1] op_sel_hi:[0,1,0]
	v_mov_b32_e32 v65, v33
	v_mov_b32_e32 v47, v35
	v_pk_add_f32 v[32:33], v[64:65], v[46:47]
	v_pk_add_f32 v[34:35], v[64:65], v[46:47] neg_lo:[0,1] neg_hi:[0,1]
	s_waitcnt lgkmcnt(2)
	v_pk_add_f32 v[50:51], v[22:23], v[64:65]
	v_pk_fma_f32 v[22:23], v[32:33], 0.5, v[22:23] op_sel_hi:[1,0,1] neg_lo:[1,0,0] neg_hi:[1,0,0]
	v_pk_mul_f32 v[32:33], v[34:35], s[2:3] op_sel_hi:[1,0]
	v_pk_add_f32 v[34:35], v[50:51], v[46:47]
	v_pk_add_f32 v[46:47], v[22:23], v[32:33] op_sel:[0,1] op_sel_hi:[1,0] neg_lo:[0,1] neg_hi:[0,1]
	v_pk_add_f32 v[22:23], v[22:23], v[32:33] op_sel:[0,1] op_sel_hi:[1,0]
	global_store_dwordx2 v[4:5], v[34:35], off
	v_mov_b32_e32 v4, v22
	v_mov_b32_e32 v5, v47
	;; [unrolled: 1-line block ×3, first 2 shown]
	global_store_dwordx2 v[56:57], v[4:5], off
	global_store_dwordx2 v[58:59], v[46:47], off
	v_mov_b32_e32 v4, v67
	v_mad_u64_u32 v[4:5], s[6:7], s17, v7, v[4:5]
	v_add_u32_e32 v7, 0x168, v52
	v_mad_u64_u32 v[22:23], s[6:7], s16, v7, 0
	v_mov_b32_e32 v20, v23
	v_mad_u64_u32 v[32:33], s[6:7], s17, v7, v[20:21]
	v_mov_b32_e32 v20, v31
	s_waitcnt vmcnt(4)
	v_pk_mul_f32 v[30:31], v[20:21], v[36:37] op_sel_hi:[0,1]
	v_mov_b32_e32 v20, v21
	v_mov_b32_e32 v28, v21
	v_pk_fma_f32 v[20:21], v[20:21], v[36:37], v[30:31] op_sel:[0,0,1] op_sel_hi:[1,1,0] neg_lo:[0,0,1] neg_hi:[0,0,1]
	v_pk_fma_f32 v[30:31], v[28:29], v[36:37], v[30:31] op_sel:[0,0,1] op_sel_hi:[0,1,0]
	v_mov_b32_e32 v21, v31
	v_pk_mul_f32 v[30:31], v[24:25], v[38:39] op_sel_hi:[0,1]
	v_mov_b32_e32 v23, v32
	v_pk_fma_f32 v[32:33], v[12:13], v[38:39], v[30:31] op_sel:[0,0,1] op_sel_hi:[1,1,0] neg_lo:[0,0,1] neg_hi:[0,0,1]
	v_pk_fma_f32 v[30:31], v[12:13], v[38:39], v[30:31] op_sel:[0,0,1] op_sel_hi:[0,1,0]
	v_mov_b32_e32 v33, v31
	v_pk_add_f32 v[30:31], v[20:21], v[32:33]
	v_pk_add_f32 v[34:35], v[20:21], v[32:33] neg_lo:[0,1] neg_hi:[0,1]
	s_waitcnt lgkmcnt(1)
	v_pk_fma_f32 v[30:31], v[30:31], 0.5, v[18:19] op_sel_hi:[1,0,1] neg_lo:[1,0,0] neg_hi:[1,0,0]
	v_pk_mul_f32 v[34:35], v[34:35], s[2:3] op_sel_hi:[1,0]
	v_pk_add_f32 v[18:19], v[18:19], v[20:21]
	v_mov_b32_e32 v67, v4
	v_pk_add_f32 v[36:37], v[30:31], v[34:35] op_sel:[0,1] op_sel_hi:[1,0] neg_lo:[0,1] neg_hi:[0,1]
	v_pk_add_f32 v[30:31], v[30:31], v[34:35] op_sel:[0,1] op_sel_hi:[1,0]
	v_pk_add_f32 v[18:19], v[18:19], v[32:33]
	v_lshl_add_u64 v[4:5], v[66:67], 3, v[2:3]
	global_store_dwordx2 v[54:55], v[18:19], off
	v_mov_b32_e32 v18, v30
	v_mov_b32_e32 v19, v37
	global_store_dwordx2 v[4:5], v[18:19], off
	v_add_u32_e32 v4, 0x6c, v48
	v_lshrrev_b32_e32 v5, 2, v4
	v_mul_hi_u32 v5, v5, s4
	v_lshrrev_b32_e32 v5, 2, v5
	v_mul_lo_u32 v7, v5, s3
	v_sub_u32_e32 v4, v4, v7
	v_mad_u64_u32 v[4:5], s[4:5], v5, s5, v[4:5]
	v_mad_u64_u32 v[18:19], s[4:5], s16, v4, 0
	v_mov_b32_e32 v12, v19
	v_mad_u64_u32 v[20:21], s[4:5], s17, v4, v[12:13]
	v_add_u32_e32 v5, 0xb4, v4
	v_mov_b32_e32 v19, v20
	v_mad_u64_u32 v[20:21], s[4:5], s16, v5, 0
	v_lshl_add_u64 v[22:23], v[22:23], 3, v[2:3]
	v_mov_b32_e32 v37, v31
	v_mov_b32_e32 v12, v21
	v_add_u32_e32 v7, 0x168, v4
	global_store_dwordx2 v[22:23], v[36:37], off
	v_mad_u64_u32 v[22:23], s[4:5], s17, v5, v[12:13]
	v_mad_u64_u32 v[4:5], s[4:5], s16, v7, 0
	v_mov_b32_e32 v12, v5
	v_mov_b32_e32 v21, v22
	v_mad_u64_u32 v[22:23], s[4:5], s17, v7, v[12:13]
	v_mov_b32_e32 v5, v22
	s_waitcnt vmcnt(6)
	v_pk_mul_f32 v[22:23], v[26:27], v[40:41] op_sel_hi:[0,1]
	v_pk_fma_f32 v[26:27], v[14:15], v[40:41], v[22:23] op_sel:[0,0,1] op_sel_hi:[1,1,0] neg_lo:[0,0,1] neg_hi:[0,0,1]
	v_pk_fma_f32 v[14:15], v[14:15], v[40:41], v[22:23] op_sel:[0,0,1] op_sel_hi:[0,1,0]
	v_mov_b32_e32 v12, v25
	v_mov_b32_e32 v27, v15
	v_pk_mul_f32 v[14:15], v[12:13], v[42:43] op_sel_hi:[0,1]
	v_mov_b32_e32 v12, v13
	v_mov_b32_e32 v22, v13
	v_pk_fma_f32 v[12:13], v[12:13], v[42:43], v[14:15] op_sel:[0,0,1] op_sel_hi:[1,1,0] neg_lo:[0,0,1] neg_hi:[0,0,1]
	v_pk_fma_f32 v[14:15], v[22:23], v[42:43], v[14:15] op_sel:[0,0,1] op_sel_hi:[0,1,0]
	v_mov_b32_e32 v13, v15
	v_pk_add_f32 v[14:15], v[26:27], v[12:13]
	v_pk_add_f32 v[22:23], v[26:27], v[12:13] neg_lo:[0,1] neg_hi:[0,1]
	s_waitcnt lgkmcnt(0)
	v_pk_fma_f32 v[14:15], v[14:15], 0.5, v[8:9] op_sel_hi:[1,0,1] neg_lo:[1,0,0] neg_hi:[1,0,0]
	v_pk_mul_f32 v[22:23], v[22:23], s[2:3] op_sel_hi:[1,0]
	v_pk_add_f32 v[8:9], v[8:9], v[26:27]
	v_lshl_add_u64 v[18:19], v[18:19], 3, v[2:3]
	v_pk_add_f32 v[24:25], v[14:15], v[22:23] op_sel:[0,1] op_sel_hi:[1,0] neg_lo:[0,1] neg_hi:[0,1]
	v_pk_add_f32 v[14:15], v[14:15], v[22:23] op_sel:[0,1] op_sel_hi:[1,0]
	v_pk_add_f32 v[8:9], v[8:9], v[12:13]
	v_lshl_add_u64 v[20:21], v[20:21], 3, v[2:3]
	v_lshl_add_u64 v[4:5], v[4:5], 3, v[2:3]
	global_store_dwordx2 v[18:19], v[8:9], off
	v_mov_b32_e32 v8, v14
	v_mov_b32_e32 v9, v25
	;; [unrolled: 1-line block ×3, first 2 shown]
	global_store_dwordx2 v[20:21], v[8:9], off
	global_store_dwordx2 v[4:5], v[24:25], off
	v_add_u32_e32 v4, 0xa2, v48
	v_cmp_gt_u32_e32 vcc, s3, v4
	s_and_b64 exec, exec, vcc
	s_cbranch_execz .LBB0_38
; %bb.42:
	v_subrev_u32_e32 v5, 18, v48
	v_cndmask_b32_e64 v5, v5, v44, s[0:1]
	v_lshlrev_b32_e32 v28, 1, v5
	v_lshl_add_u64 v[8:9], v[28:29], 3, s[8:9]
	global_load_dwordx4 v[12:15], v[8:9], off offset:1416
	v_mov_b32_e32 v9, v16
	v_mad_u64_u32 v[16:17], s[0:1], s16, v4, 0
	v_add_u32_e32 v7, 0x156, v48
	v_add_u32_e32 v19, 0x20a, v48
	v_mov_b32_e32 v18, v17
	v_mad_u64_u32 v[20:21], s[0:1], s16, v7, 0
	v_mad_u64_u32 v[22:23], s[0:1], s16, v19, 0
	;; [unrolled: 1-line block ×3, first 2 shown]
	v_mov_b32_e32 v18, v21
	v_mov_b32_e32 v24, v23
	;; [unrolled: 1-line block ×3, first 2 shown]
	v_mad_u64_u32 v[4:5], s[0:1], s17, v7, v[18:19]
	v_mad_u64_u32 v[18:19], s[0:1], s17, v19, v[24:25]
	v_mov_b32_e32 v21, v4
	v_mov_b32_e32 v23, v18
	v_mov_b32_e32 v8, v1
	v_lshl_add_u64 v[4:5], v[20:21], 3, v[2:3]
	v_lshl_add_u64 v[16:17], v[16:17], 3, v[2:3]
	;; [unrolled: 1-line block ×3, first 2 shown]
	s_waitcnt vmcnt(0)
	v_pk_mul_f32 v[18:19], v[10:11], v[12:13] op_sel:[1,0]
	v_pk_mul_f32 v[10:11], v[10:11], v[14:15] op_sel_hi:[0,1]
	v_pk_fma_f32 v[20:21], v[0:1], v[12:13], v[18:19] op_sel:[0,0,1] op_sel_hi:[1,1,0] neg_lo:[0,0,1] neg_hi:[0,0,1]
	v_pk_fma_f32 v[0:1], v[0:1], v[12:13], v[18:19] op_sel:[0,0,1] op_sel_hi:[0,1,0]
	v_pk_fma_f32 v[12:13], v[6:7], v[14:15], v[10:11] op_sel:[0,0,1] op_sel_hi:[1,1,0] neg_lo:[0,0,1] neg_hi:[0,0,1]
	v_pk_fma_f32 v[6:7], v[6:7], v[14:15], v[10:11] op_sel:[0,0,1] op_sel_hi:[0,1,0]
	v_mov_b32_e32 v21, v1
	v_mov_b32_e32 v13, v7
	v_pk_add_f32 v[0:1], v[20:21], v[12:13]
	v_pk_add_f32 v[6:7], v[20:21], v[12:13] neg_lo:[0,1] neg_hi:[0,1]
	v_pk_add_f32 v[10:11], v[8:9], v[20:21]
	v_pk_fma_f32 v[0:1], -0.5, v[0:1], v[8:9] op_sel_hi:[0,1,1]
	v_pk_mul_f32 v[6:7], v[6:7], s[2:3] op_sel_hi:[1,0]
	v_pk_add_f32 v[8:9], v[10:11], v[12:13]
	v_pk_add_f32 v[10:11], v[0:1], v[6:7] op_sel:[0,1] op_sel_hi:[1,0]
	v_pk_add_f32 v[0:1], v[0:1], v[6:7] op_sel:[0,1] op_sel_hi:[1,0] neg_lo:[0,1] neg_hi:[0,1]
	v_mov_b32_e32 v6, v10
	v_mov_b32_e32 v7, v1
	global_store_dwordx2 v[16:17], v[8:9], off
	v_mov_b32_e32 v1, v11
	global_store_dwordx2 v[4:5], v[6:7], off
	global_store_dwordx2 v[2:3], v[0:1], off
	s_endpgm
	.section	.rodata,"a",@progbits
	.p2align	6, 0x0
	.amdhsa_kernel fft_rtc_fwd_len540_factors_3_10_6_3_wgs_216_tpt_54_halfLds_sp_op_CI_CI_sbrr_dirReg
		.amdhsa_group_segment_fixed_size 0
		.amdhsa_private_segment_fixed_size 0
		.amdhsa_kernarg_size 104
		.amdhsa_user_sgpr_count 2
		.amdhsa_user_sgpr_dispatch_ptr 0
		.amdhsa_user_sgpr_queue_ptr 0
		.amdhsa_user_sgpr_kernarg_segment_ptr 1
		.amdhsa_user_sgpr_dispatch_id 0
		.amdhsa_user_sgpr_kernarg_preload_length 0
		.amdhsa_user_sgpr_kernarg_preload_offset 0
		.amdhsa_user_sgpr_private_segment_size 0
		.amdhsa_uses_dynamic_stack 0
		.amdhsa_enable_private_segment 0
		.amdhsa_system_sgpr_workgroup_id_x 1
		.amdhsa_system_sgpr_workgroup_id_y 0
		.amdhsa_system_sgpr_workgroup_id_z 0
		.amdhsa_system_sgpr_workgroup_info 0
		.amdhsa_system_vgpr_workitem_id 0
		.amdhsa_next_free_vgpr 73
		.amdhsa_next_free_sgpr 32
		.amdhsa_accum_offset 76
		.amdhsa_reserve_vcc 1
		.amdhsa_float_round_mode_32 0
		.amdhsa_float_round_mode_16_64 0
		.amdhsa_float_denorm_mode_32 3
		.amdhsa_float_denorm_mode_16_64 3
		.amdhsa_dx10_clamp 1
		.amdhsa_ieee_mode 1
		.amdhsa_fp16_overflow 0
		.amdhsa_tg_split 0
		.amdhsa_exception_fp_ieee_invalid_op 0
		.amdhsa_exception_fp_denorm_src 0
		.amdhsa_exception_fp_ieee_div_zero 0
		.amdhsa_exception_fp_ieee_overflow 0
		.amdhsa_exception_fp_ieee_underflow 0
		.amdhsa_exception_fp_ieee_inexact 0
		.amdhsa_exception_int_div_zero 0
	.end_amdhsa_kernel
	.text
.Lfunc_end0:
	.size	fft_rtc_fwd_len540_factors_3_10_6_3_wgs_216_tpt_54_halfLds_sp_op_CI_CI_sbrr_dirReg, .Lfunc_end0-fft_rtc_fwd_len540_factors_3_10_6_3_wgs_216_tpt_54_halfLds_sp_op_CI_CI_sbrr_dirReg
                                        ; -- End function
	.section	.AMDGPU.csdata,"",@progbits
; Kernel info:
; codeLenInByte = 7500
; NumSgprs: 38
; NumVgprs: 73
; NumAgprs: 0
; TotalNumVgprs: 73
; ScratchSize: 0
; MemoryBound: 0
; FloatMode: 240
; IeeeMode: 1
; LDSByteSize: 0 bytes/workgroup (compile time only)
; SGPRBlocks: 4
; VGPRBlocks: 9
; NumSGPRsForWavesPerEU: 38
; NumVGPRsForWavesPerEU: 73
; AccumOffset: 76
; Occupancy: 6
; WaveLimiterHint : 1
; COMPUTE_PGM_RSRC2:SCRATCH_EN: 0
; COMPUTE_PGM_RSRC2:USER_SGPR: 2
; COMPUTE_PGM_RSRC2:TRAP_HANDLER: 0
; COMPUTE_PGM_RSRC2:TGID_X_EN: 1
; COMPUTE_PGM_RSRC2:TGID_Y_EN: 0
; COMPUTE_PGM_RSRC2:TGID_Z_EN: 0
; COMPUTE_PGM_RSRC2:TIDIG_COMP_CNT: 0
; COMPUTE_PGM_RSRC3_GFX90A:ACCUM_OFFSET: 18
; COMPUTE_PGM_RSRC3_GFX90A:TG_SPLIT: 0
	.text
	.p2alignl 6, 3212836864
	.fill 256, 4, 3212836864
	.type	__hip_cuid_b76a42f5af810dbd,@object ; @__hip_cuid_b76a42f5af810dbd
	.section	.bss,"aw",@nobits
	.globl	__hip_cuid_b76a42f5af810dbd
__hip_cuid_b76a42f5af810dbd:
	.byte	0                               ; 0x0
	.size	__hip_cuid_b76a42f5af810dbd, 1

	.ident	"AMD clang version 19.0.0git (https://github.com/RadeonOpenCompute/llvm-project roc-6.4.0 25133 c7fe45cf4b819c5991fe208aaa96edf142730f1d)"
	.section	".note.GNU-stack","",@progbits
	.addrsig
	.addrsig_sym __hip_cuid_b76a42f5af810dbd
	.amdgpu_metadata
---
amdhsa.kernels:
  - .agpr_count:     0
    .args:
      - .actual_access:  read_only
        .address_space:  global
        .offset:         0
        .size:           8
        .value_kind:     global_buffer
      - .offset:         8
        .size:           8
        .value_kind:     by_value
      - .actual_access:  read_only
        .address_space:  global
        .offset:         16
        .size:           8
        .value_kind:     global_buffer
      - .actual_access:  read_only
        .address_space:  global
        .offset:         24
        .size:           8
        .value_kind:     global_buffer
      - .actual_access:  read_only
        .address_space:  global
        .offset:         32
        .size:           8
        .value_kind:     global_buffer
      - .offset:         40
        .size:           8
        .value_kind:     by_value
      - .actual_access:  read_only
        .address_space:  global
        .offset:         48
        .size:           8
        .value_kind:     global_buffer
      - .actual_access:  read_only
        .address_space:  global
        .offset:         56
        .size:           8
        .value_kind:     global_buffer
      - .offset:         64
        .size:           4
        .value_kind:     by_value
      - .actual_access:  read_only
        .address_space:  global
        .offset:         72
        .size:           8
        .value_kind:     global_buffer
      - .actual_access:  read_only
        .address_space:  global
        .offset:         80
        .size:           8
        .value_kind:     global_buffer
      - .actual_access:  read_only
        .address_space:  global
        .offset:         88
        .size:           8
        .value_kind:     global_buffer
      - .actual_access:  write_only
        .address_space:  global
        .offset:         96
        .size:           8
        .value_kind:     global_buffer
    .group_segment_fixed_size: 0
    .kernarg_segment_align: 8
    .kernarg_segment_size: 104
    .language:       OpenCL C
    .language_version:
      - 2
      - 0
    .max_flat_workgroup_size: 216
    .name:           fft_rtc_fwd_len540_factors_3_10_6_3_wgs_216_tpt_54_halfLds_sp_op_CI_CI_sbrr_dirReg
    .private_segment_fixed_size: 0
    .sgpr_count:     38
    .sgpr_spill_count: 0
    .symbol:         fft_rtc_fwd_len540_factors_3_10_6_3_wgs_216_tpt_54_halfLds_sp_op_CI_CI_sbrr_dirReg.kd
    .uniform_work_group_size: 1
    .uses_dynamic_stack: false
    .vgpr_count:     73
    .vgpr_spill_count: 0
    .wavefront_size: 64
amdhsa.target:   amdgcn-amd-amdhsa--gfx950
amdhsa.version:
  - 1
  - 2
...

	.end_amdgpu_metadata
